;; amdgpu-corpus repo=ROCm/rocFFT kind=compiled arch=gfx950 opt=O3
	.text
	.amdgcn_target "amdgcn-amd-amdhsa--gfx950"
	.amdhsa_code_object_version 6
	.protected	fft_rtc_back_len256_factors_4_4_4_4_wgs_256_tpt_32_sp_op_CI_CI_sbrc_z_xy_aligned_dirReg ; -- Begin function fft_rtc_back_len256_factors_4_4_4_4_wgs_256_tpt_32_sp_op_CI_CI_sbrc_z_xy_aligned_dirReg
	.globl	fft_rtc_back_len256_factors_4_4_4_4_wgs_256_tpt_32_sp_op_CI_CI_sbrc_z_xy_aligned_dirReg
	.p2align	8
	.type	fft_rtc_back_len256_factors_4_4_4_4_wgs_256_tpt_32_sp_op_CI_CI_sbrc_z_xy_aligned_dirReg,@function
fft_rtc_back_len256_factors_4_4_4_4_wgs_256_tpt_32_sp_op_CI_CI_sbrc_z_xy_aligned_dirReg: ; @fft_rtc_back_len256_factors_4_4_4_4_wgs_256_tpt_32_sp_op_CI_CI_sbrc_z_xy_aligned_dirReg
; %bb.0:
	s_load_dwordx8 s[4:11], s[0:1], 0x0
	v_bfe_u32 v26, v0, 3, 2
	s_waitcnt lgkmcnt(0)
	s_load_dwordx4 s[12:15], s[8:9], 0x8
	s_waitcnt lgkmcnt(0)
	s_add_i32 s3, s12, -1
	s_lshr_b32 s3, s3, 3
	s_add_i32 s8, s3, 1
	s_mul_i32 s9, s8, s14
	v_cvt_f32_u32_e32 v2, s9
	v_cvt_f32_u32_e32 v1, s8
	s_sub_i32 s16, 0, s9
	s_load_dwordx4 s[12:15], s[10:11], 0x0
	v_rcp_iflag_f32_e32 v2, v2
	v_rcp_iflag_f32_e32 v1, v1
	s_waitcnt lgkmcnt(0)
	s_load_dword s15, s[10:11], 0x10
	v_mul_f32_e32 v2, 0x4f7ffffe, v2
	v_cvt_u32_f32_e32 v2, v2
	v_mul_f32_e32 v1, 0x4f7ffffe, v1
	v_cvt_u32_f32_e32 v1, v1
	v_readfirstlane_b32 s18, v2
	s_mul_i32 s16, s16, s18
	s_mul_hi_u32 s16, s18, s16
	s_add_i32 s18, s18, s16
	s_mul_hi_u32 s16, s2, s18
	s_mul_i32 s18, s16, s9
	s_sub_i32 s18, s2, s18
	s_add_i32 s19, s16, 1
	s_sub_i32 s20, s18, s9
	s_cmp_ge_u32 s18, s9
	s_cselect_b32 s16, s19, s16
	s_cselect_b32 s18, s20, s18
	s_add_i32 s19, s16, 1
	s_cmp_ge_u32 s18, s9
	v_readfirstlane_b32 s17, v1
	s_cselect_b32 s20, s19, s16
	s_not_b32 s3, s3
	s_mul_i32 s3, s3, s17
	s_mul_i32 s9, s20, s9
	s_mul_hi_u32 s3, s17, s3
	s_sub_i32 s9, s2, s9
	s_add_i32 s17, s17, s3
	s_mul_hi_u32 s3, s9, s17
	s_mul_i32 s16, s3, s8
	s_sub_i32 s9, s9, s16
	s_add_i32 s18, s3, 1
	s_sub_i32 s16, s9, s8
	s_cmp_ge_u32 s9, s8
	s_cselect_b32 s3, s18, s3
	s_cselect_b32 s9, s16, s9
	s_add_i32 s16, s3, 1
	s_cmp_ge_u32 s9, s8
	s_cselect_b32 s21, s16, s3
	s_mul_hi_u32 s3, s2, s17
	s_mul_i32 s3, s3, s8
	s_sub_i32 s2, s2, s3
	s_sub_i32 s3, s2, s8
	s_cmp_ge_u32 s2, s8
	s_cselect_b32 s2, s3, s2
	s_sub_i32 s3, s2, s8
	s_cmp_ge_u32 s2, s8
	s_cselect_b32 s2, s3, s2
	s_lshl_b32 s22, s2, 3
	s_waitcnt lgkmcnt(0)
	s_mul_i32 s3, s21, s15
	s_mul_i32 s2, s22, s14
	s_add_i32 s16, s2, s3
	s_lshl_b64 s[2:3], s[6:7], 3
	s_add_u32 s6, s10, s2
	s_addc_u32 s7, s11, s3
	s_load_dwordx2 s[24:25], s[6:7], 0x0
	s_load_dwordx2 s[18:19], s[0:1], 0x20
	s_mov_b32 s17, 0
	s_mov_b32 s15, s17
	v_and_b32_e32 v1, 7, v0
	s_waitcnt lgkmcnt(0)
	s_mul_i32 s6, s25, s20
	s_mul_hi_u32 s7, s24, s20
	s_add_i32 s25, s7, s6
	s_add_u32 s2, s18, s2
	s_addc_u32 s3, s19, s3
	s_load_dwordx2 s[6:7], s[2:3], 0x0
	s_load_dwordx4 s[8:11], s[0:1], 0x58
	s_mul_i32 s24, s24, s20
	v_lshlrev_b32_e32 v40, 3, v1
                                        ; kill: killed $sgpr18 killed $sgpr19
	s_waitcnt lgkmcnt(0)
	s_mul_i32 s0, s7, s20
	s_mul_hi_u32 s1, s6, s20
	s_add_i32 s7, s1, s0
	v_mad_u64_u32 v[2:3], s[0:1], s12, v0, 0
	v_mov_b32_e32 v4, v3
	v_mad_u64_u32 v[4:5], s[0:1], s13, v0, v[4:5]
	s_lshl_b64 s[0:1], s[24:25], 3
	s_add_u32 s2, s8, s0
	s_addc_u32 s3, s9, s1
	s_lshl_b64 s[0:1], s[16:17], 3
	s_add_u32 s0, s2, s0
	v_mov_b32_e32 v3, v4
	s_addc_u32 s1, s3, s1
	v_lshl_add_u64 v[2:3], v[2:3], 3, s[0:1]
	s_add_i32 s16, s14, s14
	v_lshl_add_u64 v[6:7], s[16:17], 3, v[2:3]
	s_add_i32 s16, s16, s14
	v_lshl_add_u64 v[4:5], s[14:15], 3, v[2:3]
	v_lshl_add_u64 v[8:9], s[16:17], 3, v[2:3]
	s_add_i32 s16, s16, s14
	global_load_dwordx2 v[10:11], v[2:3], off
	global_load_dwordx2 v[12:13], v[4:5], off
	;; [unrolled: 1-line block ×4, first 2 shown]
	v_lshl_add_u64 v[4:5], s[16:17], 3, v[2:3]
	s_add_i32 s16, s16, s14
	v_lshl_add_u64 v[6:7], s[16:17], 3, v[2:3]
	s_add_i32 s16, s16, s14
	;; [unrolled: 2-line block ×3, first 2 shown]
	v_lshl_add_u64 v[2:3], s[16:17], 3, v[2:3]
	global_load_dwordx2 v[18:19], v[4:5], off
	global_load_dwordx2 v[20:21], v[6:7], off
	;; [unrolled: 1-line block ×4, first 2 shown]
	v_lshrrev_b32_e32 v2, 3, v0
	v_lshlrev_b32_e32 v4, 6, v2
	v_or_b32_e32 v41, 32, v2
	v_lshl_add_u32 v3, v0, 6, 0
	v_mul_u32_u24_e32 v5, 3, v26
	v_add3_u32 v42, 0, v4, v40
	v_lshlrev_b32_e32 v4, 8, v41
	s_load_dwordx4 s[0:3], s[18:19], 0x0
	v_lshlrev_b32_e32 v27, 3, v5
	v_add3_u32 v29, 0, v4, v40
	s_waitcnt lgkmcnt(0)
	s_load_dword s3, s[18:19], 0x10
	s_movk_i32 s8, 0xc0
	v_mad_u32_u24 v28, v2, s8, v42
	s_movk_i32 s12, 0x70
	v_bfe_u32 v0, v0, 3, 4
	s_movk_i32 s13, 0xf0
	v_lshlrev_b32_e32 v43, 2, v41
	s_movk_i32 s9, 0xff40
	v_mad_i32_i24 v45, v41, s9, v29
	s_mul_i32 s6, s6, s20
	s_mul_i32 s16, s21, s2
	s_waitcnt vmcnt(6)
	ds_write2_b64 v3, v[10:11], v[12:13] offset1:1
	s_waitcnt vmcnt(4)
	ds_write2_b64 v3, v[14:15], v[16:17] offset0:2 offset1:3
	s_waitcnt vmcnt(2)
	ds_write2_b64 v3, v[18:19], v[20:21] offset0:4 offset1:5
	;; [unrolled: 2-line block ×3, first 2 shown]
	s_waitcnt lgkmcnt(0)
	s_barrier
	ds_read2st64_b64 v[4:7], v42 offset1:4
	ds_read2st64_b64 v[8:11], v42 offset0:8 offset1:12
	ds_read2st64_b64 v[12:15], v42 offset0:16 offset1:20
	;; [unrolled: 1-line block ×3, first 2 shown]
	s_waitcnt lgkmcnt(0)
	s_barrier
	v_pk_add_f32 v[12:13], v[4:5], v[12:13] neg_lo:[0,1] neg_hi:[0,1]
	v_pk_add_f32 v[16:17], v[8:9], v[16:17] neg_lo:[0,1] neg_hi:[0,1]
	;; [unrolled: 1-line block ×4, first 2 shown]
	v_pk_fma_f32 v[4:5], v[4:5], 2.0, v[12:13] op_sel_hi:[1,0,1] neg_lo:[0,0,1] neg_hi:[0,0,1]
	v_pk_fma_f32 v[8:9], v[8:9], 2.0, v[16:17] op_sel_hi:[1,0,1] neg_lo:[0,0,1] neg_hi:[0,0,1]
	v_pk_add_f32 v[20:21], v[12:13], v[16:17] op_sel:[0,1] op_sel_hi:[1,0]
	v_pk_add_f32 v[16:17], v[12:13], v[16:17] op_sel:[0,1] op_sel_hi:[1,0] neg_lo:[0,1] neg_hi:[0,1]
	v_pk_fma_f32 v[6:7], v[6:7], 2.0, v[14:15] op_sel_hi:[1,0,1] neg_lo:[0,0,1] neg_hi:[0,0,1]
	v_pk_fma_f32 v[10:11], v[10:11], 2.0, v[18:19] op_sel_hi:[1,0,1] neg_lo:[0,0,1] neg_hi:[0,0,1]
	v_pk_add_f32 v[22:23], v[14:15], v[18:19] op_sel:[0,1] op_sel_hi:[1,0]
	v_pk_add_f32 v[18:19], v[14:15], v[18:19] op_sel:[0,1] op_sel_hi:[1,0] neg_lo:[0,1] neg_hi:[0,1]
	v_pk_add_f32 v[8:9], v[4:5], v[8:9] neg_lo:[0,1] neg_hi:[0,1]
	v_mov_b32_e32 v21, v17
	v_pk_add_f32 v[10:11], v[6:7], v[10:11] neg_lo:[0,1] neg_hi:[0,1]
	v_mov_b32_e32 v23, v19
	v_pk_fma_f32 v[4:5], v[4:5], 2.0, v[8:9] op_sel_hi:[1,0,1] neg_lo:[0,0,1] neg_hi:[0,0,1]
	v_pk_fma_f32 v[12:13], v[12:13], 2.0, v[20:21] op_sel_hi:[1,0,1] neg_lo:[0,0,1] neg_hi:[0,0,1]
	;; [unrolled: 1-line block ×3, first 2 shown]
	ds_write2_b64 v28, v[8:9], v[20:21] offset0:16 offset1:24
	v_pk_fma_f32 v[8:9], v[14:15], 2.0, v[22:23] op_sel_hi:[1,0,1] neg_lo:[0,0,1] neg_hi:[0,0,1]
	ds_write2_b64 v28, v[4:5], v[12:13] offset1:8
	ds_write2_b64 v29, v[6:7], v[8:9] offset1:8
	ds_write2_b64 v29, v[10:11], v[22:23] offset0:16 offset1:24
	s_waitcnt lgkmcnt(0)
	s_barrier
	global_load_dwordx4 v[4:7], v27, s[4:5]
	global_load_dwordx2 v[20:21], v27, s[4:5] offset:16
	v_lshlrev_b32_e32 v3, 2, v2
	v_mul_u32_u24_e32 v8, 3, v0
	v_and_or_b32 v9, v3, s12, v26
	v_lshlrev_b32_e32 v44, 3, v8
	v_lshlrev_b32_e32 v8, 6, v9
	v_and_or_b32 v9, v43, s13, v26
	v_add3_u32 v46, 0, v8, v40
	v_lshlrev_b32_e32 v8, 6, v9
	v_add3_u32 v47, 0, v8, v40
	ds_read2st64_b64 v[8:11], v42 offset1:8
	ds_read2st64_b64 v[12:15], v42 offset0:12 offset1:16
	ds_read2st64_b64 v[16:19], v42 offset0:20 offset1:24
	ds_read_b64 v[22:23], v45
	ds_read_b64 v[24:25], v42 offset:14336
	s_waitcnt lgkmcnt(0)
	s_barrier
	v_and_or_b32 v3, v3, 64, v0
	v_and_or_b32 v0, v43, s8, v0
	v_lshlrev_b32_e32 v3, 6, v3
	v_lshlrev_b32_e32 v0, 6, v0
	v_add3_u32 v3, 0, v3, v40
	v_add3_u32 v0, 0, v0, v40
	v_add_u32_e32 v40, 0x3800, v42
	s_waitcnt vmcnt(1)
	v_pk_mul_f32 v[26:27], v[4:5], v[12:13] op_sel:[0,1]
	v_pk_mul_f32 v[28:29], v[6:7], v[16:17] op_sel:[0,1]
	s_waitcnt vmcnt(0)
	v_pk_mul_f32 v[30:31], v[20:21], v[24:25] op_sel:[0,1]
	v_pk_mul_f32 v[32:33], v[4:5], v[10:11] op_sel:[0,1]
	;; [unrolled: 1-line block ×4, first 2 shown]
	v_pk_fma_f32 v[38:39], v[4:5], v[12:13], v[26:27] op_sel:[0,0,1] op_sel_hi:[1,1,0]
	v_pk_fma_f32 v[12:13], v[4:5], v[12:13], v[26:27] op_sel:[0,0,1] op_sel_hi:[1,0,0] neg_lo:[1,0,0] neg_hi:[1,0,0]
	v_pk_fma_f32 v[26:27], v[6:7], v[16:17], v[28:29] op_sel:[0,0,1] op_sel_hi:[1,1,0]
	v_pk_fma_f32 v[16:17], v[6:7], v[16:17], v[28:29] op_sel:[0,0,1] op_sel_hi:[1,0,0] neg_lo:[1,0,0] neg_hi:[1,0,0]
	;; [unrolled: 2-line block ×6, first 2 shown]
	v_mov_b32_e32 v39, v13
	v_mov_b32_e32 v27, v17
	;; [unrolled: 1-line block ×6, first 2 shown]
	v_pk_add_f32 v[4:5], v[22:23], v[26:27] neg_lo:[0,1] neg_hi:[0,1]
	v_pk_add_f32 v[6:7], v[38:39], v[28:29] neg_lo:[0,1] neg_hi:[0,1]
	v_pk_add_f32 v[10:11], v[8:9], v[10:11] neg_lo:[0,1] neg_hi:[0,1]
	v_pk_add_f32 v[12:13], v[30:31], v[14:15] neg_lo:[0,1] neg_hi:[0,1]
	v_pk_fma_f32 v[14:15], v[22:23], 2.0, v[4:5] op_sel_hi:[1,0,1] neg_lo:[0,0,1] neg_hi:[0,0,1]
	v_pk_fma_f32 v[16:17], v[38:39], 2.0, v[6:7] op_sel_hi:[1,0,1] neg_lo:[0,0,1] neg_hi:[0,0,1]
	;; [unrolled: 1-line block ×4, first 2 shown]
	v_pk_add_f32 v[20:21], v[10:11], v[12:13] op_sel:[0,1] op_sel_hi:[1,0]
	v_pk_add_f32 v[12:13], v[10:11], v[12:13] op_sel:[0,1] op_sel_hi:[1,0] neg_lo:[0,1] neg_hi:[0,1]
	v_pk_add_f32 v[22:23], v[4:5], v[6:7] op_sel:[0,1] op_sel_hi:[1,0]
	v_pk_add_f32 v[6:7], v[4:5], v[6:7] op_sel:[0,1] op_sel_hi:[1,0] neg_lo:[0,1] neg_hi:[0,1]
	v_pk_add_f32 v[16:17], v[14:15], v[16:17] neg_lo:[0,1] neg_hi:[0,1]
	v_pk_add_f32 v[18:19], v[8:9], v[18:19] neg_lo:[0,1] neg_hi:[0,1]
	v_mov_b32_e32 v21, v13
	v_mov_b32_e32 v23, v7
	v_pk_fma_f32 v[6:7], v[14:15], 2.0, v[16:17] op_sel_hi:[1,0,1] neg_lo:[0,0,1] neg_hi:[0,0,1]
	v_pk_fma_f32 v[8:9], v[8:9], 2.0, v[18:19] op_sel_hi:[1,0,1] neg_lo:[0,0,1] neg_hi:[0,0,1]
	v_pk_fma_f32 v[10:11], v[10:11], 2.0, v[20:21] op_sel_hi:[1,0,1] neg_lo:[0,0,1] neg_hi:[0,0,1]
	v_pk_fma_f32 v[4:5], v[4:5], 2.0, v[22:23] op_sel_hi:[1,0,1] neg_lo:[0,0,1] neg_hi:[0,0,1]
	ds_write2_b64 v46, v[18:19], v[20:21] offset0:64 offset1:96
	ds_write2_b64 v46, v[8:9], v[10:11] offset1:32
	ds_write2_b64 v47, v[6:7], v[4:5] offset1:32
	ds_write2_b64 v47, v[16:17], v[22:23] offset0:64 offset1:96
	s_waitcnt lgkmcnt(0)
	s_barrier
	global_load_dwordx4 v[4:7], v44, s[4:5] offset:96
	global_load_dwordx2 v[20:21], v44, s[4:5] offset:112
	v_mul_u32_u24_e32 v8, 3, v2
	v_lshlrev_b32_e32 v44, 3, v8
	ds_read2st64_b64 v[8:11], v42 offset1:8
	ds_read2st64_b64 v[12:15], v42 offset0:12 offset1:16
	ds_read2st64_b64 v[16:19], v42 offset0:20 offset1:24
	ds_read_b64 v[22:23], v45
	ds_read_b64 v[24:25], v42 offset:14336
	s_waitcnt lgkmcnt(0)
	s_barrier
	v_mul_lo_u32 v2, v2, s3
	s_waitcnt vmcnt(1)
	v_pk_mul_f32 v[26:27], v[4:5], v[12:13] op_sel:[0,1]
	v_pk_mul_f32 v[28:29], v[6:7], v[16:17] op_sel:[0,1]
	s_waitcnt vmcnt(0)
	v_pk_mul_f32 v[30:31], v[20:21], v[24:25] op_sel:[0,1]
	v_pk_mul_f32 v[32:33], v[4:5], v[10:11] op_sel:[0,1]
	v_pk_mul_f32 v[34:35], v[6:7], v[14:15] op_sel:[0,1]
	v_pk_mul_f32 v[36:37], v[20:21], v[18:19] op_sel:[0,1]
	v_pk_fma_f32 v[38:39], v[4:5], v[12:13], v[26:27] op_sel:[0,0,1] op_sel_hi:[1,1,0]
	v_pk_fma_f32 v[12:13], v[4:5], v[12:13], v[26:27] op_sel:[0,0,1] op_sel_hi:[1,0,0] neg_lo:[1,0,0] neg_hi:[1,0,0]
	v_pk_fma_f32 v[26:27], v[6:7], v[16:17], v[28:29] op_sel:[0,0,1] op_sel_hi:[1,1,0]
	v_pk_fma_f32 v[16:17], v[6:7], v[16:17], v[28:29] op_sel:[0,0,1] op_sel_hi:[1,0,0] neg_lo:[1,0,0] neg_hi:[1,0,0]
	;; [unrolled: 2-line block ×6, first 2 shown]
	v_mov_b32_e32 v31, v5
	v_mov_b32_e32 v11, v7
	;; [unrolled: 1-line block ×6, first 2 shown]
	v_pk_add_f32 v[10:11], v[8:9], v[10:11] neg_lo:[0,1] neg_hi:[0,1]
	v_pk_add_f32 v[12:13], v[30:31], v[14:15] neg_lo:[0,1] neg_hi:[0,1]
	;; [unrolled: 1-line block ×4, first 2 shown]
	v_pk_fma_f32 v[8:9], v[8:9], 2.0, v[10:11] op_sel_hi:[1,0,1] neg_lo:[0,0,1] neg_hi:[0,0,1]
	v_pk_fma_f32 v[18:19], v[30:31], 2.0, v[12:13] op_sel_hi:[1,0,1] neg_lo:[0,0,1] neg_hi:[0,0,1]
	v_pk_add_f32 v[20:21], v[10:11], v[12:13] op_sel:[0,1] op_sel_hi:[1,0]
	v_pk_add_f32 v[12:13], v[10:11], v[12:13] op_sel:[0,1] op_sel_hi:[1,0] neg_lo:[0,1] neg_hi:[0,1]
	v_pk_fma_f32 v[14:15], v[22:23], 2.0, v[4:5] op_sel_hi:[1,0,1] neg_lo:[0,0,1] neg_hi:[0,0,1]
	v_pk_fma_f32 v[16:17], v[38:39], 2.0, v[6:7] op_sel_hi:[1,0,1] neg_lo:[0,0,1] neg_hi:[0,0,1]
	v_pk_add_f32 v[22:23], v[4:5], v[6:7] op_sel:[0,1] op_sel_hi:[1,0]
	v_pk_add_f32 v[6:7], v[4:5], v[6:7] op_sel:[0,1] op_sel_hi:[1,0] neg_lo:[0,1] neg_hi:[0,1]
	v_pk_add_f32 v[18:19], v[8:9], v[18:19] neg_lo:[0,1] neg_hi:[0,1]
	v_mov_b32_e32 v21, v13
	v_pk_add_f32 v[16:17], v[14:15], v[16:17] neg_lo:[0,1] neg_hi:[0,1]
	v_mov_b32_e32 v23, v7
	v_pk_fma_f32 v[8:9], v[8:9], 2.0, v[18:19] op_sel_hi:[1,0,1] neg_lo:[0,0,1] neg_hi:[0,0,1]
	v_pk_fma_f32 v[10:11], v[10:11], 2.0, v[20:21] op_sel_hi:[1,0,1] neg_lo:[0,0,1] neg_hi:[0,0,1]
	v_pk_fma_f32 v[6:7], v[14:15], 2.0, v[16:17] op_sel_hi:[1,0,1] neg_lo:[0,0,1] neg_hi:[0,0,1]
	ds_write2st64_b64 v3, v[18:19], v[20:21] offset0:4 offset1:6
	v_pk_fma_f32 v[4:5], v[4:5], 2.0, v[22:23] op_sel_hi:[1,0,1] neg_lo:[0,0,1] neg_hi:[0,0,1]
	ds_write2st64_b64 v3, v[8:9], v[10:11] offset1:2
	ds_write2st64_b64 v0, v[6:7], v[4:5] offset1:2
	ds_write2st64_b64 v0, v[16:17], v[22:23] offset0:4 offset1:6
	v_mul_u32_u24_e32 v0, 3, v41
	s_waitcnt lgkmcnt(0)
	s_barrier
	global_load_dwordx4 v[4:7], v44, s[4:5] offset:480
	global_load_dwordx2 v[20:21], v44, s[4:5] offset:496
	v_lshlrev_b32_e32 v0, 3, v0
	global_load_dwordx4 v[8:11], v0, s[4:5] offset:480
	global_load_dwordx2 v[22:23], v0, s[4:5] offset:496
	v_or_b32_e32 v13, s22, v1
	v_mad_u64_u32 v[0:1], s[4:5], s0, v13, 0
	v_mov_b32_e32 v12, v1
	v_mad_u64_u32 v[12:13], s[0:1], s1, v13, v[12:13]
	s_lshl_b64 s[0:1], s[6:7], 3
	s_add_u32 s2, s10, s0
	s_addc_u32 s4, s11, s1
	s_lshl_b64 s[0:1], s[16:17], 3
	s_add_u32 s0, s2, s0
	v_mov_b32_e32 v1, v12
	s_addc_u32 s1, s4, s1
	v_mov_b32_e32 v3, 0
	s_lshl_b32 s2, s3, 6
	v_lshl_add_u64 v[0:1], v[0:1], 3, s[0:1]
	v_lshl_add_u64 v[24:25], v[2:3], 3, v[0:1]
	v_add_u32_e32 v2, s2, v2
	v_lshl_add_u64 v[26:27], v[2:3], 3, v[0:1]
	v_add_u32_e32 v2, s2, v2
	;; [unrolled: 2-line block ×3, first 2 shown]
	v_lshl_add_u64 v[30:31], v[2:3], 3, v[0:1]
	v_mul_lo_u32 v2, v41, s3
	v_lshl_add_u64 v[32:33], v[2:3], 3, v[0:1]
	v_add_u32_e32 v2, s2, v2
	v_lshl_add_u64 v[34:35], v[2:3], 3, v[0:1]
	v_add_u32_e32 v2, s2, v2
	v_lshl_add_u64 v[36:37], v[2:3], 3, v[0:1]
	v_add_u32_e32 v2, s2, v2
	v_lshl_add_u64 v[38:39], v[2:3], 3, v[0:1]
	ds_read2st64_b64 v[0:3], v42 offset1:8
	ds_read2st64_b64 v[12:15], v42 offset0:20 offset1:24
	ds_read2st64_b64 v[16:19], v42 offset0:12 offset1:16
	ds_read2_b32 v[40:41], v40 offset1:1
	ds_read_b64 v[42:43], v45
	s_waitcnt lgkmcnt(4)
	v_mov_b32_e32 v44, v3
	s_waitcnt lgkmcnt(3)
	v_mov_b32_e32 v46, v15
	;; [unrolled: 2-line block ×4, first 2 shown]
	v_mov_b32_e32 v52, v41
	s_waitcnt vmcnt(3)
	v_pk_mul_f32 v[54:55], v[4:5], v[2:3] op_sel_hi:[1,0]
	v_pk_mul_f32 v[56:57], v[6:7], v[18:19] op_sel:[0,1]
	v_pk_fma_f32 v[44:45], v[4:5], v[44:45], v[54:55] op_sel:[0,0,1] op_sel_hi:[1,1,0] neg_lo:[0,0,1] neg_hi:[0,0,1]
	v_pk_fma_f32 v[2:3], v[4:5], v[2:3], v[54:55] op_sel:[0,1,1] op_sel_hi:[1,1,0]
	v_pk_fma_f32 v[4:5], v[6:7], v[18:19], v[56:57] op_sel:[0,0,1] op_sel_hi:[1,1,0]
	v_pk_fma_f32 v[6:7], v[6:7], v[18:19], v[56:57] op_sel:[0,0,1] op_sel_hi:[1,0,0] neg_lo:[1,0,0] neg_hi:[1,0,0]
	s_waitcnt vmcnt(2)
	v_pk_mul_f32 v[18:19], v[20:21], v[14:15] op_sel_hi:[1,0]
	s_waitcnt vmcnt(1)
	v_pk_mul_f32 v[54:55], v[8:9], v[16:17] op_sel_hi:[1,0]
	v_pk_fma_f32 v[46:47], v[20:21], v[46:47], v[18:19] op_sel:[0,0,1] op_sel_hi:[1,1,0] neg_lo:[0,0,1] neg_hi:[0,0,1]
	v_pk_fma_f32 v[14:15], v[20:21], v[14:15], v[18:19] op_sel:[0,1,1] op_sel_hi:[1,1,0]
	v_pk_mul_f32 v[18:19], v[10:11], v[12:13] op_sel:[0,1]
	s_waitcnt vmcnt(0)
	v_pk_mul_f32 v[20:21], v[22:23], v[40:41] op_sel_hi:[1,0]
	v_pk_fma_f32 v[40:41], v[8:9], v[48:49], v[54:55] op_sel:[0,0,1] op_sel_hi:[1,1,0] neg_lo:[0,0,1] neg_hi:[0,0,1]
	v_pk_fma_f32 v[8:9], v[8:9], v[16:17], v[54:55] op_sel:[0,1,1] op_sel_hi:[1,1,0]
	v_pk_fma_f32 v[16:17], v[10:11], v[12:13], v[18:19] op_sel:[0,0,1] op_sel_hi:[1,1,0]
	v_pk_fma_f32 v[10:11], v[10:11], v[12:13], v[18:19] op_sel:[0,0,1] op_sel_hi:[1,0,0] neg_lo:[1,0,0] neg_hi:[1,0,0]
	v_pk_fma_f32 v[12:13], v[50:51], v[22:23], v[20:21] op_sel:[0,0,1] op_sel_hi:[1,1,0] neg_lo:[0,0,1] neg_hi:[0,0,1]
	v_pk_fma_f32 v[18:19], v[52:53], v[22:23], v[20:21] op_sel:[0,0,1] op_sel_hi:[0,1,0]
	v_mov_b32_e32 v45, v3
	v_mov_b32_e32 v5, v7
	v_mov_b32_e32 v47, v15
	v_mov_b32_e32 v41, v9
	v_mov_b32_e32 v17, v11
	v_mov_b32_e32 v13, v19
	v_pk_add_f32 v[2:3], v[0:1], v[4:5] neg_lo:[0,1] neg_hi:[0,1]
	v_pk_add_f32 v[4:5], v[44:45], v[46:47] neg_lo:[0,1] neg_hi:[0,1]
	s_waitcnt lgkmcnt(0)
	v_pk_add_f32 v[6:7], v[42:43], v[16:17] neg_lo:[0,1] neg_hi:[0,1]
	v_pk_add_f32 v[8:9], v[40:41], v[12:13] neg_lo:[0,1] neg_hi:[0,1]
	v_pk_add_f32 v[10:11], v[2:3], v[4:5]
	v_pk_add_f32 v[12:13], v[2:3], v[4:5] neg_lo:[0,1] neg_hi:[0,1]
	v_pk_fma_f32 v[0:1], v[0:1], 2.0, v[2:3] op_sel_hi:[1,0,1] neg_lo:[0,0,1] neg_hi:[0,0,1]
	v_pk_fma_f32 v[4:5], v[44:45], 2.0, v[4:5] op_sel_hi:[1,0,1] neg_lo:[0,0,1] neg_hi:[0,0,1]
	v_pk_add_f32 v[14:15], v[6:7], v[8:9]
	v_pk_add_f32 v[16:17], v[6:7], v[8:9] neg_lo:[0,1] neg_hi:[0,1]
	v_pk_fma_f32 v[18:19], v[42:43], 2.0, v[6:7] op_sel_hi:[1,0,1] neg_lo:[0,0,1] neg_hi:[0,0,1]
	v_pk_fma_f32 v[8:9], v[40:41], 2.0, v[8:9] op_sel_hi:[1,0,1] neg_lo:[0,0,1] neg_hi:[0,0,1]
	v_pk_add_f32 v[4:5], v[0:1], v[4:5] op_sel:[0,1] op_sel_hi:[1,0] neg_lo:[0,1] neg_hi:[0,1]
	v_mov_b32_e32 v11, v13
	v_mov_b32_e32 v15, v17
	v_pk_add_f32 v[8:9], v[18:19], v[8:9] op_sel:[0,1] op_sel_hi:[1,0] neg_lo:[0,1] neg_hi:[0,1]
	v_pk_fma_f32 v[0:1], v[0:1], 2.0, v[4:5] op_sel_hi:[1,0,1] neg_lo:[0,0,1] neg_hi:[0,0,1]
	v_pk_fma_f32 v[2:3], v[2:3], 2.0, v[10:11] op_sel_hi:[1,0,1] neg_lo:[0,0,1] neg_hi:[0,0,1]
	;; [unrolled: 1-line block ×4, first 2 shown]
	global_store_dwordx2 v[24:25], v[0:1], off
	global_store_dwordx2 v[26:27], v[2:3], off
	;; [unrolled: 1-line block ×8, first 2 shown]
	s_endpgm
	.section	.rodata,"a",@progbits
	.p2align	6, 0x0
	.amdhsa_kernel fft_rtc_back_len256_factors_4_4_4_4_wgs_256_tpt_32_sp_op_CI_CI_sbrc_z_xy_aligned_dirReg
		.amdhsa_group_segment_fixed_size 0
		.amdhsa_private_segment_fixed_size 0
		.amdhsa_kernarg_size 104
		.amdhsa_user_sgpr_count 2
		.amdhsa_user_sgpr_dispatch_ptr 0
		.amdhsa_user_sgpr_queue_ptr 0
		.amdhsa_user_sgpr_kernarg_segment_ptr 1
		.amdhsa_user_sgpr_dispatch_id 0
		.amdhsa_user_sgpr_kernarg_preload_length 0
		.amdhsa_user_sgpr_kernarg_preload_offset 0
		.amdhsa_user_sgpr_private_segment_size 0
		.amdhsa_uses_dynamic_stack 0
		.amdhsa_enable_private_segment 0
		.amdhsa_system_sgpr_workgroup_id_x 1
		.amdhsa_system_sgpr_workgroup_id_y 0
		.amdhsa_system_sgpr_workgroup_id_z 0
		.amdhsa_system_sgpr_workgroup_info 0
		.amdhsa_system_vgpr_workitem_id 0
		.amdhsa_next_free_vgpr 58
		.amdhsa_next_free_sgpr 26
		.amdhsa_accum_offset 60
		.amdhsa_reserve_vcc 0
		.amdhsa_float_round_mode_32 0
		.amdhsa_float_round_mode_16_64 0
		.amdhsa_float_denorm_mode_32 3
		.amdhsa_float_denorm_mode_16_64 3
		.amdhsa_dx10_clamp 1
		.amdhsa_ieee_mode 1
		.amdhsa_fp16_overflow 0
		.amdhsa_tg_split 0
		.amdhsa_exception_fp_ieee_invalid_op 0
		.amdhsa_exception_fp_denorm_src 0
		.amdhsa_exception_fp_ieee_div_zero 0
		.amdhsa_exception_fp_ieee_overflow 0
		.amdhsa_exception_fp_ieee_underflow 0
		.amdhsa_exception_fp_ieee_inexact 0
		.amdhsa_exception_int_div_zero 0
	.end_amdhsa_kernel
	.text
.Lfunc_end0:
	.size	fft_rtc_back_len256_factors_4_4_4_4_wgs_256_tpt_32_sp_op_CI_CI_sbrc_z_xy_aligned_dirReg, .Lfunc_end0-fft_rtc_back_len256_factors_4_4_4_4_wgs_256_tpt_32_sp_op_CI_CI_sbrc_z_xy_aligned_dirReg
                                        ; -- End function
	.section	.AMDGPU.csdata,"",@progbits
; Kernel info:
; codeLenInByte = 2680
; NumSgprs: 32
; NumVgprs: 58
; NumAgprs: 0
; TotalNumVgprs: 58
; ScratchSize: 0
; MemoryBound: 0
; FloatMode: 240
; IeeeMode: 1
; LDSByteSize: 0 bytes/workgroup (compile time only)
; SGPRBlocks: 3
; VGPRBlocks: 7
; NumSGPRsForWavesPerEU: 32
; NumVGPRsForWavesPerEU: 58
; AccumOffset: 60
; Occupancy: 8
; WaveLimiterHint : 1
; COMPUTE_PGM_RSRC2:SCRATCH_EN: 0
; COMPUTE_PGM_RSRC2:USER_SGPR: 2
; COMPUTE_PGM_RSRC2:TRAP_HANDLER: 0
; COMPUTE_PGM_RSRC2:TGID_X_EN: 1
; COMPUTE_PGM_RSRC2:TGID_Y_EN: 0
; COMPUTE_PGM_RSRC2:TGID_Z_EN: 0
; COMPUTE_PGM_RSRC2:TIDIG_COMP_CNT: 0
; COMPUTE_PGM_RSRC3_GFX90A:ACCUM_OFFSET: 14
; COMPUTE_PGM_RSRC3_GFX90A:TG_SPLIT: 0
	.text
	.p2alignl 6, 3212836864
	.fill 256, 4, 3212836864
	.type	__hip_cuid_69c53084e7d72a68,@object ; @__hip_cuid_69c53084e7d72a68
	.section	.bss,"aw",@nobits
	.globl	__hip_cuid_69c53084e7d72a68
__hip_cuid_69c53084e7d72a68:
	.byte	0                               ; 0x0
	.size	__hip_cuid_69c53084e7d72a68, 1

	.ident	"AMD clang version 19.0.0git (https://github.com/RadeonOpenCompute/llvm-project roc-6.4.0 25133 c7fe45cf4b819c5991fe208aaa96edf142730f1d)"
	.section	".note.GNU-stack","",@progbits
	.addrsig
	.addrsig_sym __hip_cuid_69c53084e7d72a68
	.amdgpu_metadata
---
amdhsa.kernels:
  - .agpr_count:     0
    .args:
      - .actual_access:  read_only
        .address_space:  global
        .offset:         0
        .size:           8
        .value_kind:     global_buffer
      - .offset:         8
        .size:           8
        .value_kind:     by_value
      - .actual_access:  read_only
        .address_space:  global
        .offset:         16
        .size:           8
        .value_kind:     global_buffer
      - .actual_access:  read_only
        .address_space:  global
        .offset:         24
        .size:           8
        .value_kind:     global_buffer
      - .actual_access:  read_only
        .address_space:  global
        .offset:         32
        .size:           8
        .value_kind:     global_buffer
      - .offset:         40
        .size:           8
        .value_kind:     by_value
      - .actual_access:  read_only
        .address_space:  global
        .offset:         48
        .size:           8
        .value_kind:     global_buffer
      - .actual_access:  read_only
        .address_space:  global
        .offset:         56
        .size:           8
        .value_kind:     global_buffer
      - .offset:         64
        .size:           4
        .value_kind:     by_value
      - .actual_access:  read_only
        .address_space:  global
        .offset:         72
        .size:           8
        .value_kind:     global_buffer
      - .actual_access:  read_only
        .address_space:  global
        .offset:         80
        .size:           8
        .value_kind:     global_buffer
      - .actual_access:  read_only
        .address_space:  global
        .offset:         88
        .size:           8
        .value_kind:     global_buffer
      - .actual_access:  write_only
        .address_space:  global
        .offset:         96
        .size:           8
        .value_kind:     global_buffer
    .group_segment_fixed_size: 0
    .kernarg_segment_align: 8
    .kernarg_segment_size: 104
    .language:       OpenCL C
    .language_version:
      - 2
      - 0
    .max_flat_workgroup_size: 256
    .name:           fft_rtc_back_len256_factors_4_4_4_4_wgs_256_tpt_32_sp_op_CI_CI_sbrc_z_xy_aligned_dirReg
    .private_segment_fixed_size: 0
    .sgpr_count:     32
    .sgpr_spill_count: 0
    .symbol:         fft_rtc_back_len256_factors_4_4_4_4_wgs_256_tpt_32_sp_op_CI_CI_sbrc_z_xy_aligned_dirReg.kd
    .uniform_work_group_size: 1
    .uses_dynamic_stack: false
    .vgpr_count:     58
    .vgpr_spill_count: 0
    .wavefront_size: 64
amdhsa.target:   amdgcn-amd-amdhsa--gfx950
amdhsa.version:
  - 1
  - 2
...

	.end_amdgpu_metadata
